;; amdgpu-corpus repo=LLNL/RAJAPerf kind=compiled arch=gfx906 opt=O3
	.amdgcn_target "amdgcn-amd-amdhsa--gfx906"
	.amdhsa_code_object_version 6
	.section	.text._ZN8rajaperf5basic11nested_initILm32ELm8ELm1EEEvPdlll,"axG",@progbits,_ZN8rajaperf5basic11nested_initILm32ELm8ELm1EEEvPdlll,comdat
	.protected	_ZN8rajaperf5basic11nested_initILm32ELm8ELm1EEEvPdlll ; -- Begin function _ZN8rajaperf5basic11nested_initILm32ELm8ELm1EEEvPdlll
	.globl	_ZN8rajaperf5basic11nested_initILm32ELm8ELm1EEEvPdlll
	.p2align	8
	.type	_ZN8rajaperf5basic11nested_initILm32ELm8ELm1EEEvPdlll,@function
_ZN8rajaperf5basic11nested_initILm32ELm8ELm1EEEvPdlll: ; @_ZN8rajaperf5basic11nested_initILm32ELm8ELm1EEEvPdlll
; %bb.0:
	s_mov_b32 s0, s7
	s_mov_b32 s7, 0
	s_load_dwordx8 s[12:19], s[4:5], 0x0
	s_lshl_b64 s[2:3], s[6:7], 5
	v_mov_b32_e32 v3, s3
	v_add_co_u32_e32 v2, vcc, s2, v0
	s_mov_b32 s1, s7
	v_addc_co_u32_e32 v3, vcc, 0, v3, vcc
	s_lshl_b64 s[0:1], s[0:1], 3
	v_mov_b32_e32 v4, s1
	v_add_co_u32_e32 v0, vcc, s0, v1
	v_addc_co_u32_e32 v1, vcc, 0, v4, vcc
	s_mov_b32 s9, s7
	v_mov_b32_e32 v4, s8
	s_waitcnt lgkmcnt(0)
	v_cmp_gt_i64_e32 vcc, s[14:15], v[2:3]
	v_cmp_gt_i64_e64 s[0:1], s[16:17], v[0:1]
	v_mov_b32_e32 v5, s9
	v_cmp_gt_i64_e64 s[2:3], s[18:19], v[4:5]
	s_and_b64 s[0:1], vcc, s[0:1]
	s_and_b64 s[0:1], s[0:1], s[2:3]
	s_and_saveexec_b64 s[2:3], s[0:1]
	s_cbranch_execz .LBB0_2
; %bb.1:
	v_cvt_f64_u32_e32 v[4:5], v3
	v_cvt_f64_u32_e32 v[6:7], v1
	;; [unrolled: 1-line block ×3, first 2 shown]
	s_mov_b32 s0, 0xe2308c3a
	v_ldexp_f64 v[4:5], v[4:5], 32
	v_ldexp_f64 v[6:7], v[6:7], 32
	s_mov_b32 s1, 0x3e45798e
	v_mov_b32_e32 v10, s8
	v_lshlrev_b64 v[2:3], 3, v[2:3]
	v_add_co_u32_e32 v2, vcc, s12, v2
	v_add_f64 v[4:5], v[4:5], v[8:9]
	v_cvt_f64_u32_e32 v[8:9], v0
	v_add_f64 v[6:7], v[6:7], v[8:9]
	v_mul_f64 v[4:5], v[4:5], s[0:1]
	v_mad_u64_u32 v[0:1], s[0:1], s16, v10, v[0:1]
	s_mul_i32 s0, s17, s8
	v_mov_b32_e32 v10, s13
	v_add_u32_e32 v8, s0, v1
	v_mul_lo_u32 v9, v0, s15
	v_mad_u64_u32 v[0:1], s[0:1], v0, s14, 0
	v_mul_f64 v[4:5], v[4:5], v[6:7]
	v_cvt_f64_u32_e32 v[6:7], s8
	v_mul_lo_u32 v8, v8, s14
	v_addc_co_u32_e32 v3, vcc, v10, v3, vcc
	v_add3_u32 v1, v1, v9, v8
	v_lshlrev_b64 v[0:1], 3, v[0:1]
	v_mul_f64 v[4:5], v[4:5], v[6:7]
	v_add_co_u32_e32 v0, vcc, v2, v0
	v_addc_co_u32_e32 v1, vcc, v3, v1, vcc
	global_store_dwordx2 v[0:1], v[4:5], off
.LBB0_2:
	s_endpgm
	.section	.rodata,"a",@progbits
	.p2align	6, 0x0
	.amdhsa_kernel _ZN8rajaperf5basic11nested_initILm32ELm8ELm1EEEvPdlll
		.amdhsa_group_segment_fixed_size 0
		.amdhsa_private_segment_fixed_size 0
		.amdhsa_kernarg_size 32
		.amdhsa_user_sgpr_count 6
		.amdhsa_user_sgpr_private_segment_buffer 1
		.amdhsa_user_sgpr_dispatch_ptr 0
		.amdhsa_user_sgpr_queue_ptr 0
		.amdhsa_user_sgpr_kernarg_segment_ptr 1
		.amdhsa_user_sgpr_dispatch_id 0
		.amdhsa_user_sgpr_flat_scratch_init 0
		.amdhsa_user_sgpr_private_segment_size 0
		.amdhsa_uses_dynamic_stack 0
		.amdhsa_system_sgpr_private_segment_wavefront_offset 0
		.amdhsa_system_sgpr_workgroup_id_x 1
		.amdhsa_system_sgpr_workgroup_id_y 1
		.amdhsa_system_sgpr_workgroup_id_z 1
		.amdhsa_system_sgpr_workgroup_info 0
		.amdhsa_system_vgpr_workitem_id 1
		.amdhsa_next_free_vgpr 11
		.amdhsa_next_free_sgpr 20
		.amdhsa_reserve_vcc 1
		.amdhsa_reserve_flat_scratch 0
		.amdhsa_float_round_mode_32 0
		.amdhsa_float_round_mode_16_64 0
		.amdhsa_float_denorm_mode_32 3
		.amdhsa_float_denorm_mode_16_64 3
		.amdhsa_dx10_clamp 1
		.amdhsa_ieee_mode 1
		.amdhsa_fp16_overflow 0
		.amdhsa_exception_fp_ieee_invalid_op 0
		.amdhsa_exception_fp_denorm_src 0
		.amdhsa_exception_fp_ieee_div_zero 0
		.amdhsa_exception_fp_ieee_overflow 0
		.amdhsa_exception_fp_ieee_underflow 0
		.amdhsa_exception_fp_ieee_inexact 0
		.amdhsa_exception_int_div_zero 0
	.end_amdhsa_kernel
	.section	.text._ZN8rajaperf5basic11nested_initILm32ELm8ELm1EEEvPdlll,"axG",@progbits,_ZN8rajaperf5basic11nested_initILm32ELm8ELm1EEEvPdlll,comdat
.Lfunc_end0:
	.size	_ZN8rajaperf5basic11nested_initILm32ELm8ELm1EEEvPdlll, .Lfunc_end0-_ZN8rajaperf5basic11nested_initILm32ELm8ELm1EEEvPdlll
                                        ; -- End function
	.set _ZN8rajaperf5basic11nested_initILm32ELm8ELm1EEEvPdlll.num_vgpr, 11
	.set _ZN8rajaperf5basic11nested_initILm32ELm8ELm1EEEvPdlll.num_agpr, 0
	.set _ZN8rajaperf5basic11nested_initILm32ELm8ELm1EEEvPdlll.numbered_sgpr, 20
	.set _ZN8rajaperf5basic11nested_initILm32ELm8ELm1EEEvPdlll.num_named_barrier, 0
	.set _ZN8rajaperf5basic11nested_initILm32ELm8ELm1EEEvPdlll.private_seg_size, 0
	.set _ZN8rajaperf5basic11nested_initILm32ELm8ELm1EEEvPdlll.uses_vcc, 1
	.set _ZN8rajaperf5basic11nested_initILm32ELm8ELm1EEEvPdlll.uses_flat_scratch, 0
	.set _ZN8rajaperf5basic11nested_initILm32ELm8ELm1EEEvPdlll.has_dyn_sized_stack, 0
	.set _ZN8rajaperf5basic11nested_initILm32ELm8ELm1EEEvPdlll.has_recursion, 0
	.set _ZN8rajaperf5basic11nested_initILm32ELm8ELm1EEEvPdlll.has_indirect_call, 0
	.section	.AMDGPU.csdata,"",@progbits
; Kernel info:
; codeLenInByte = 296
; TotalNumSgprs: 24
; NumVgprs: 11
; ScratchSize: 0
; MemoryBound: 0
; FloatMode: 240
; IeeeMode: 1
; LDSByteSize: 0 bytes/workgroup (compile time only)
; SGPRBlocks: 2
; VGPRBlocks: 2
; NumSGPRsForWavesPerEU: 24
; NumVGPRsForWavesPerEU: 11
; Occupancy: 10
; WaveLimiterHint : 0
; COMPUTE_PGM_RSRC2:SCRATCH_EN: 0
; COMPUTE_PGM_RSRC2:USER_SGPR: 6
; COMPUTE_PGM_RSRC2:TRAP_HANDLER: 0
; COMPUTE_PGM_RSRC2:TGID_X_EN: 1
; COMPUTE_PGM_RSRC2:TGID_Y_EN: 1
; COMPUTE_PGM_RSRC2:TGID_Z_EN: 1
; COMPUTE_PGM_RSRC2:TIDIG_COMP_CNT: 1
	.section	.text._ZN8rajaperf5basic15nested_init_lamILm32ELm8ELm1EZNS0_11NESTED_INIT17runHipVariantImplILm256EEEvNS_9VariantIDEEUllllE_EEvlllT2_,"axG",@progbits,_ZN8rajaperf5basic15nested_init_lamILm32ELm8ELm1EZNS0_11NESTED_INIT17runHipVariantImplILm256EEEvNS_9VariantIDEEUllllE_EEvlllT2_,comdat
	.protected	_ZN8rajaperf5basic15nested_init_lamILm32ELm8ELm1EZNS0_11NESTED_INIT17runHipVariantImplILm256EEEvNS_9VariantIDEEUllllE_EEvlllT2_ ; -- Begin function _ZN8rajaperf5basic15nested_init_lamILm32ELm8ELm1EZNS0_11NESTED_INIT17runHipVariantImplILm256EEEvNS_9VariantIDEEUllllE_EEvlllT2_
	.globl	_ZN8rajaperf5basic15nested_init_lamILm32ELm8ELm1EZNS0_11NESTED_INIT17runHipVariantImplILm256EEEvNS_9VariantIDEEUllllE_EEvlllT2_
	.p2align	8
	.type	_ZN8rajaperf5basic15nested_init_lamILm32ELm8ELm1EZNS0_11NESTED_INIT17runHipVariantImplILm256EEEvNS_9VariantIDEEUllllE_EEvlllT2_,@function
_ZN8rajaperf5basic15nested_init_lamILm32ELm8ELm1EZNS0_11NESTED_INIT17runHipVariantImplILm256EEEvNS_9VariantIDEEUllllE_EEvlllT2_: ; @_ZN8rajaperf5basic15nested_init_lamILm32ELm8ELm1EZNS0_11NESTED_INIT17runHipVariantImplILm256EEEvNS_9VariantIDEEUllllE_EEvlllT2_
; %bb.0:
	s_mov_b32 s10, s7
	s_mov_b32 s7, 0
	s_lshl_b64 s[14:15], s[6:7], 5
	s_load_dwordx4 s[0:3], s[4:5], 0x0
	s_load_dwordx2 s[12:13], s[4:5], 0x10
	v_mov_b32_e32 v3, s15
	v_add_co_u32_e32 v2, vcc, s14, v0
	s_mov_b32 s11, s7
	v_addc_co_u32_e32 v3, vcc, 0, v3, vcc
	s_lshl_b64 s[10:11], s[10:11], 3
	v_mov_b32_e32 v4, s11
	v_add_co_u32_e32 v0, vcc, s10, v1
	v_addc_co_u32_e32 v1, vcc, 0, v4, vcc
	s_mov_b32 s9, s7
	v_mov_b32_e32 v4, s8
	s_waitcnt lgkmcnt(0)
	v_cmp_gt_i64_e32 vcc, s[0:1], v[2:3]
	v_cmp_gt_i64_e64 s[0:1], s[2:3], v[0:1]
	v_mov_b32_e32 v5, s9
	v_cmp_gt_i64_e64 s[2:3], s[12:13], v[4:5]
	s_and_b64 s[0:1], vcc, s[0:1]
	s_and_b64 s[0:1], s[0:1], s[2:3]
	s_and_saveexec_b64 s[2:3], s[0:1]
	s_cbranch_execz .LBB1_2
; %bb.1:
	v_cvt_f64_u32_e32 v[4:5], v3
	v_cvt_f64_u32_e32 v[6:7], v1
	;; [unrolled: 1-line block ×3, first 2 shown]
	s_load_dwordx4 s[0:3], s[4:5], 0x18
	s_load_dwordx2 s[6:7], s[4:5], 0x28
	v_ldexp_f64 v[4:5], v[4:5], 32
	v_ldexp_f64 v[6:7], v[6:7], 32
	s_mov_b32 s4, 0xe2308c3a
	s_mov_b32 s5, 0x3e45798e
	v_mov_b32_e32 v10, s8
	v_lshlrev_b64 v[2:3], 3, v[2:3]
	s_waitcnt lgkmcnt(0)
	v_add_co_u32_e32 v2, vcc, s0, v2
	v_add_f64 v[4:5], v[4:5], v[8:9]
	v_cvt_f64_u32_e32 v[8:9], v0
	v_add_f64 v[6:7], v[6:7], v[8:9]
	v_mul_f64 v[4:5], v[4:5], s[4:5]
	v_mad_u64_u32 v[0:1], s[4:5], s6, v10, v[0:1]
	s_mul_i32 s4, s7, s8
	v_mov_b32_e32 v10, s1
	v_add_u32_e32 v8, s4, v1
	v_mul_lo_u32 v9, v0, s3
	v_mad_u64_u32 v[0:1], s[4:5], v0, s2, 0
	v_mul_f64 v[4:5], v[4:5], v[6:7]
	v_cvt_f64_u32_e32 v[6:7], s8
	v_mul_lo_u32 v8, v8, s2
	v_addc_co_u32_e32 v3, vcc, v10, v3, vcc
	v_add3_u32 v1, v1, v9, v8
	v_lshlrev_b64 v[0:1], 3, v[0:1]
	v_mul_f64 v[4:5], v[4:5], v[6:7]
	v_add_co_u32_e32 v0, vcc, v2, v0
	v_addc_co_u32_e32 v1, vcc, v3, v1, vcc
	global_store_dwordx2 v[0:1], v[4:5], off
.LBB1_2:
	s_endpgm
	.section	.rodata,"a",@progbits
	.p2align	6, 0x0
	.amdhsa_kernel _ZN8rajaperf5basic15nested_init_lamILm32ELm8ELm1EZNS0_11NESTED_INIT17runHipVariantImplILm256EEEvNS_9VariantIDEEUllllE_EEvlllT2_
		.amdhsa_group_segment_fixed_size 0
		.amdhsa_private_segment_fixed_size 0
		.amdhsa_kernarg_size 48
		.amdhsa_user_sgpr_count 6
		.amdhsa_user_sgpr_private_segment_buffer 1
		.amdhsa_user_sgpr_dispatch_ptr 0
		.amdhsa_user_sgpr_queue_ptr 0
		.amdhsa_user_sgpr_kernarg_segment_ptr 1
		.amdhsa_user_sgpr_dispatch_id 0
		.amdhsa_user_sgpr_flat_scratch_init 0
		.amdhsa_user_sgpr_private_segment_size 0
		.amdhsa_uses_dynamic_stack 0
		.amdhsa_system_sgpr_private_segment_wavefront_offset 0
		.amdhsa_system_sgpr_workgroup_id_x 1
		.amdhsa_system_sgpr_workgroup_id_y 1
		.amdhsa_system_sgpr_workgroup_id_z 1
		.amdhsa_system_sgpr_workgroup_info 0
		.amdhsa_system_vgpr_workitem_id 1
		.amdhsa_next_free_vgpr 11
		.amdhsa_next_free_sgpr 16
		.amdhsa_reserve_vcc 1
		.amdhsa_reserve_flat_scratch 0
		.amdhsa_float_round_mode_32 0
		.amdhsa_float_round_mode_16_64 0
		.amdhsa_float_denorm_mode_32 3
		.amdhsa_float_denorm_mode_16_64 3
		.amdhsa_dx10_clamp 1
		.amdhsa_ieee_mode 1
		.amdhsa_fp16_overflow 0
		.amdhsa_exception_fp_ieee_invalid_op 0
		.amdhsa_exception_fp_denorm_src 0
		.amdhsa_exception_fp_ieee_div_zero 0
		.amdhsa_exception_fp_ieee_overflow 0
		.amdhsa_exception_fp_ieee_underflow 0
		.amdhsa_exception_fp_ieee_inexact 0
		.amdhsa_exception_int_div_zero 0
	.end_amdhsa_kernel
	.section	.text._ZN8rajaperf5basic15nested_init_lamILm32ELm8ELm1EZNS0_11NESTED_INIT17runHipVariantImplILm256EEEvNS_9VariantIDEEUllllE_EEvlllT2_,"axG",@progbits,_ZN8rajaperf5basic15nested_init_lamILm32ELm8ELm1EZNS0_11NESTED_INIT17runHipVariantImplILm256EEEvNS_9VariantIDEEUllllE_EEvlllT2_,comdat
.Lfunc_end1:
	.size	_ZN8rajaperf5basic15nested_init_lamILm32ELm8ELm1EZNS0_11NESTED_INIT17runHipVariantImplILm256EEEvNS_9VariantIDEEUllllE_EEvlllT2_, .Lfunc_end1-_ZN8rajaperf5basic15nested_init_lamILm32ELm8ELm1EZNS0_11NESTED_INIT17runHipVariantImplILm256EEEvNS_9VariantIDEEUllllE_EEvlllT2_
                                        ; -- End function
	.set _ZN8rajaperf5basic15nested_init_lamILm32ELm8ELm1EZNS0_11NESTED_INIT17runHipVariantImplILm256EEEvNS_9VariantIDEEUllllE_EEvlllT2_.num_vgpr, 11
	.set _ZN8rajaperf5basic15nested_init_lamILm32ELm8ELm1EZNS0_11NESTED_INIT17runHipVariantImplILm256EEEvNS_9VariantIDEEUllllE_EEvlllT2_.num_agpr, 0
	.set _ZN8rajaperf5basic15nested_init_lamILm32ELm8ELm1EZNS0_11NESTED_INIT17runHipVariantImplILm256EEEvNS_9VariantIDEEUllllE_EEvlllT2_.numbered_sgpr, 16
	.set _ZN8rajaperf5basic15nested_init_lamILm32ELm8ELm1EZNS0_11NESTED_INIT17runHipVariantImplILm256EEEvNS_9VariantIDEEUllllE_EEvlllT2_.num_named_barrier, 0
	.set _ZN8rajaperf5basic15nested_init_lamILm32ELm8ELm1EZNS0_11NESTED_INIT17runHipVariantImplILm256EEEvNS_9VariantIDEEUllllE_EEvlllT2_.private_seg_size, 0
	.set _ZN8rajaperf5basic15nested_init_lamILm32ELm8ELm1EZNS0_11NESTED_INIT17runHipVariantImplILm256EEEvNS_9VariantIDEEUllllE_EEvlllT2_.uses_vcc, 1
	.set _ZN8rajaperf5basic15nested_init_lamILm32ELm8ELm1EZNS0_11NESTED_INIT17runHipVariantImplILm256EEEvNS_9VariantIDEEUllllE_EEvlllT2_.uses_flat_scratch, 0
	.set _ZN8rajaperf5basic15nested_init_lamILm32ELm8ELm1EZNS0_11NESTED_INIT17runHipVariantImplILm256EEEvNS_9VariantIDEEUllllE_EEvlllT2_.has_dyn_sized_stack, 0
	.set _ZN8rajaperf5basic15nested_init_lamILm32ELm8ELm1EZNS0_11NESTED_INIT17runHipVariantImplILm256EEEvNS_9VariantIDEEUllllE_EEvlllT2_.has_recursion, 0
	.set _ZN8rajaperf5basic15nested_init_lamILm32ELm8ELm1EZNS0_11NESTED_INIT17runHipVariantImplILm256EEEvNS_9VariantIDEEUllllE_EEvlllT2_.has_indirect_call, 0
	.section	.AMDGPU.csdata,"",@progbits
; Kernel info:
; codeLenInByte = 324
; TotalNumSgprs: 20
; NumVgprs: 11
; ScratchSize: 0
; MemoryBound: 0
; FloatMode: 240
; IeeeMode: 1
; LDSByteSize: 0 bytes/workgroup (compile time only)
; SGPRBlocks: 2
; VGPRBlocks: 2
; NumSGPRsForWavesPerEU: 20
; NumVGPRsForWavesPerEU: 11
; Occupancy: 10
; WaveLimiterHint : 0
; COMPUTE_PGM_RSRC2:SCRATCH_EN: 0
; COMPUTE_PGM_RSRC2:USER_SGPR: 6
; COMPUTE_PGM_RSRC2:TRAP_HANDLER: 0
; COMPUTE_PGM_RSRC2:TGID_X_EN: 1
; COMPUTE_PGM_RSRC2:TGID_Y_EN: 1
; COMPUTE_PGM_RSRC2:TGID_Z_EN: 1
; COMPUTE_PGM_RSRC2:TIDIG_COMP_CNT: 1
	.section	.text._ZN4RAJA8internal22HipKernelLauncherFixedILi256ENS0_8LoopDataIN4camp5tupleIJNS_4SpanINS_9Iterators16numeric_iteratorIllPlEElEESA_SA_EEENS4_IJEEENS3_9resources2v13HipEJZN8rajaperf5basic11NESTED_INIT17runHipVariantImplILm256EEEvNSG_9VariantIDEEUllllE0_EEENS0_24HipStatementListExecutorISM_NS3_4listIJNS_9statement3ForILl2ENS_6policy3hip11hip_indexerINS_17iteration_mapping6DirectELNS_23kernel_sync_requirementE0EJNS_3hip11IndexGlobalILNS_9named_dimE2ELin1ELi0EEEEEEJNSQ_ILl1ENST_ISV_LSW_0EJNSY_ILSZ_1ELi8ELi0EEEEEEJNSQ_ILl0ENST_ISV_LSW_0EJNSY_ILSZ_0ELi32ELi0EEEEEEJNSP_6LambdaILl0EJEEEEEEEEEEEEEEENS0_9LoopTypesINSO_IJvvvEEES1D_EEEEEEvT0_,"axG",@progbits,_ZN4RAJA8internal22HipKernelLauncherFixedILi256ENS0_8LoopDataIN4camp5tupleIJNS_4SpanINS_9Iterators16numeric_iteratorIllPlEElEESA_SA_EEENS4_IJEEENS3_9resources2v13HipEJZN8rajaperf5basic11NESTED_INIT17runHipVariantImplILm256EEEvNSG_9VariantIDEEUllllE0_EEENS0_24HipStatementListExecutorISM_NS3_4listIJNS_9statement3ForILl2ENS_6policy3hip11hip_indexerINS_17iteration_mapping6DirectELNS_23kernel_sync_requirementE0EJNS_3hip11IndexGlobalILNS_9named_dimE2ELin1ELi0EEEEEEJNSQ_ILl1ENST_ISV_LSW_0EJNSY_ILSZ_1ELi8ELi0EEEEEEJNSQ_ILl0ENST_ISV_LSW_0EJNSY_ILSZ_0ELi32ELi0EEEEEEJNSP_6LambdaILl0EJEEEEEEEEEEEEEEENS0_9LoopTypesINSO_IJvvvEEES1D_EEEEEEvT0_,comdat
	.protected	_ZN4RAJA8internal22HipKernelLauncherFixedILi256ENS0_8LoopDataIN4camp5tupleIJNS_4SpanINS_9Iterators16numeric_iteratorIllPlEElEESA_SA_EEENS4_IJEEENS3_9resources2v13HipEJZN8rajaperf5basic11NESTED_INIT17runHipVariantImplILm256EEEvNSG_9VariantIDEEUllllE0_EEENS0_24HipStatementListExecutorISM_NS3_4listIJNS_9statement3ForILl2ENS_6policy3hip11hip_indexerINS_17iteration_mapping6DirectELNS_23kernel_sync_requirementE0EJNS_3hip11IndexGlobalILNS_9named_dimE2ELin1ELi0EEEEEEJNSQ_ILl1ENST_ISV_LSW_0EJNSY_ILSZ_1ELi8ELi0EEEEEEJNSQ_ILl0ENST_ISV_LSW_0EJNSY_ILSZ_0ELi32ELi0EEEEEEJNSP_6LambdaILl0EJEEEEEEEEEEEEEEENS0_9LoopTypesINSO_IJvvvEEES1D_EEEEEEvT0_ ; -- Begin function _ZN4RAJA8internal22HipKernelLauncherFixedILi256ENS0_8LoopDataIN4camp5tupleIJNS_4SpanINS_9Iterators16numeric_iteratorIllPlEElEESA_SA_EEENS4_IJEEENS3_9resources2v13HipEJZN8rajaperf5basic11NESTED_INIT17runHipVariantImplILm256EEEvNSG_9VariantIDEEUllllE0_EEENS0_24HipStatementListExecutorISM_NS3_4listIJNS_9statement3ForILl2ENS_6policy3hip11hip_indexerINS_17iteration_mapping6DirectELNS_23kernel_sync_requirementE0EJNS_3hip11IndexGlobalILNS_9named_dimE2ELin1ELi0EEEEEEJNSQ_ILl1ENST_ISV_LSW_0EJNSY_ILSZ_1ELi8ELi0EEEEEEJNSQ_ILl0ENST_ISV_LSW_0EJNSY_ILSZ_0ELi32ELi0EEEEEEJNSP_6LambdaILl0EJEEEEEEEEEEEEEEENS0_9LoopTypesINSO_IJvvvEEES1D_EEEEEEvT0_
	.globl	_ZN4RAJA8internal22HipKernelLauncherFixedILi256ENS0_8LoopDataIN4camp5tupleIJNS_4SpanINS_9Iterators16numeric_iteratorIllPlEElEESA_SA_EEENS4_IJEEENS3_9resources2v13HipEJZN8rajaperf5basic11NESTED_INIT17runHipVariantImplILm256EEEvNSG_9VariantIDEEUllllE0_EEENS0_24HipStatementListExecutorISM_NS3_4listIJNS_9statement3ForILl2ENS_6policy3hip11hip_indexerINS_17iteration_mapping6DirectELNS_23kernel_sync_requirementE0EJNS_3hip11IndexGlobalILNS_9named_dimE2ELin1ELi0EEEEEEJNSQ_ILl1ENST_ISV_LSW_0EJNSY_ILSZ_1ELi8ELi0EEEEEEJNSQ_ILl0ENST_ISV_LSW_0EJNSY_ILSZ_0ELi32ELi0EEEEEEJNSP_6LambdaILl0EJEEEEEEEEEEEEEEENS0_9LoopTypesINSO_IJvvvEEES1D_EEEEEEvT0_
	.p2align	8
	.type	_ZN4RAJA8internal22HipKernelLauncherFixedILi256ENS0_8LoopDataIN4camp5tupleIJNS_4SpanINS_9Iterators16numeric_iteratorIllPlEElEESA_SA_EEENS4_IJEEENS3_9resources2v13HipEJZN8rajaperf5basic11NESTED_INIT17runHipVariantImplILm256EEEvNSG_9VariantIDEEUllllE0_EEENS0_24HipStatementListExecutorISM_NS3_4listIJNS_9statement3ForILl2ENS_6policy3hip11hip_indexerINS_17iteration_mapping6DirectELNS_23kernel_sync_requirementE0EJNS_3hip11IndexGlobalILNS_9named_dimE2ELin1ELi0EEEEEEJNSQ_ILl1ENST_ISV_LSW_0EJNSY_ILSZ_1ELi8ELi0EEEEEEJNSQ_ILl0ENST_ISV_LSW_0EJNSY_ILSZ_0ELi32ELi0EEEEEEJNSP_6LambdaILl0EJEEEEEEEEEEEEEEENS0_9LoopTypesINSO_IJvvvEEES1D_EEEEEEvT0_,@function
_ZN4RAJA8internal22HipKernelLauncherFixedILi256ENS0_8LoopDataIN4camp5tupleIJNS_4SpanINS_9Iterators16numeric_iteratorIllPlEElEESA_SA_EEENS4_IJEEENS3_9resources2v13HipEJZN8rajaperf5basic11NESTED_INIT17runHipVariantImplILm256EEEvNSG_9VariantIDEEUllllE0_EEENS0_24HipStatementListExecutorISM_NS3_4listIJNS_9statement3ForILl2ENS_6policy3hip11hip_indexerINS_17iteration_mapping6DirectELNS_23kernel_sync_requirementE0EJNS_3hip11IndexGlobalILNS_9named_dimE2ELin1ELi0EEEEEEJNSQ_ILl1ENST_ISV_LSW_0EJNSY_ILSZ_1ELi8ELi0EEEEEEJNSQ_ILl0ENST_ISV_LSW_0EJNSY_ILSZ_0ELi32ELi0EEEEEEJNSP_6LambdaILl0EJEEEEEEEEEEEEEEENS0_9LoopTypesINSO_IJvvvEEES1D_EEEEEEvT0_: ; @_ZN4RAJA8internal22HipKernelLauncherFixedILi256ENS0_8LoopDataIN4camp5tupleIJNS_4SpanINS_9Iterators16numeric_iteratorIllPlEElEESA_SA_EEENS4_IJEEENS3_9resources2v13HipEJZN8rajaperf5basic11NESTED_INIT17runHipVariantImplILm256EEEvNSG_9VariantIDEEUllllE0_EEENS0_24HipStatementListExecutorISM_NS3_4listIJNS_9statement3ForILl2ENS_6policy3hip11hip_indexerINS_17iteration_mapping6DirectELNS_23kernel_sync_requirementE0EJNS_3hip11IndexGlobalILNS_9named_dimE2ELin1ELi0EEEEEEJNSQ_ILl1ENST_ISV_LSW_0EJNSY_ILSZ_1ELi8ELi0EEEEEEJNSQ_ILl0ENST_ISV_LSW_0EJNSY_ILSZ_0ELi32ELi0EEEEEEJNSP_6LambdaILl0EJEEEEEEEEEEEEEEENS0_9LoopTypesINSO_IJvvvEEES1D_EEEEEEvT0_
; %bb.0:
	s_load_dwordx4 s[20:23], s[4:5], 0x20
	s_load_dwordx8 s[12:19], s[4:5], 0x0
	s_mov_b32 s9, 0
	s_mov_b32 s0, s7
	;; [unrolled: 1-line block ×3, first 2 shown]
	s_waitcnt lgkmcnt(0)
	s_sub_u32 s2, s22, s20
	s_subb_u32 s3, s23, s21
	s_sub_u32 s10, s18, s16
	s_subb_u32 s11, s19, s17
	s_lshl_b64 s[0:1], s[0:1], 3
	v_mov_b32_e32 v2, s1
	v_add_co_u32_e32 v1, vcc, s0, v1
	v_addc_co_u32_e32 v2, vcc, 0, v2, vcc
	v_cmp_gt_i64_e32 vcc, s[10:11], v[1:2]
	s_sub_u32 s10, s14, s12
	s_mov_b32 s7, s9
	s_subb_u32 s11, s15, s13
	s_lshl_b64 s[0:1], s[6:7], 5
	v_mov_b32_e32 v4, s1
	v_add_co_u32_e64 v3, s[0:1], s0, v0
	v_mov_b32_e32 v5, s8
	v_addc_co_u32_e64 v4, s[0:1], 0, v4, s[0:1]
	v_mov_b32_e32 v6, s9
	v_cmp_gt_i64_e64 s[0:1], s[10:11], v[3:4]
	v_cmp_gt_i64_e64 s[2:3], s[2:3], v[5:6]
	s_and_b64 s[0:1], vcc, s[0:1]
	s_and_b64 s[0:1], s[0:1], s[2:3]
	s_and_saveexec_b64 s[2:3], s[0:1]
	s_cbranch_execz .LBB2_2
; %bb.1:
	v_mov_b32_e32 v0, s13
	v_add_co_u32_e32 v3, vcc, s12, v3
	v_addc_co_u32_e32 v4, vcc, v0, v4, vcc
	v_cvt_f64_i32_e32 v[5:6], v4
	v_mov_b32_e32 v7, s17
	v_add_co_u32_e32 v0, vcc, s16, v1
	v_ldexp_f64 v[5:6], v[5:6], 32
	v_addc_co_u32_e32 v1, vcc, v7, v2, vcc
	v_cvt_f64_i32_e32 v[7:8], v1
	v_cvt_f64_u32_e32 v[9:10], v3
	s_add_u32 s8, s20, s8
	s_addc_u32 s9, s21, 0
	v_ldexp_f64 v[7:8], v[7:8], 32
	v_add_f64 v[5:6], v[5:6], v[9:10]
	v_cvt_f64_u32_e32 v[9:10], v0
	v_cvt_f64_i32_e32 v[11:12], s9
	s_mov_b32 s0, 0xe2308c3a
	s_mov_b32 s1, 0x3e45798e
	v_mov_b32_e32 v2, s8
	v_add_f64 v[7:8], v[7:8], v[9:10]
	v_ldexp_f64 v[9:10], v[11:12], 32
	v_mul_f64 v[5:6], v[5:6], s[0:1]
	v_cvt_f64_u32_e32 v[11:12], s8
	s_load_dwordx4 s[0:3], s[4:5], 0x48
	s_load_dwordx2 s[6:7], s[4:5], 0x58
	v_add_f64 v[9:10], v[9:10], v[11:12]
	v_mul_f64 v[5:6], v[5:6], v[7:8]
	s_waitcnt lgkmcnt(0)
	v_mad_u64_u32 v[0:1], s[4:5], s6, v2, v[0:1]
	s_mul_i32 s4, s7, s8
	s_mul_i32 s5, s6, s9
	s_add_i32 s5, s5, s4
	v_add_u32_e32 v1, s5, v1
	v_mul_lo_u32 v2, v1, s2
	v_mul_lo_u32 v7, v0, s3
	v_mad_u64_u32 v[0:1], s[2:3], v0, s2, 0
	v_mul_f64 v[5:6], v[5:6], v[9:10]
	v_add3_u32 v1, v1, v7, v2
	v_lshlrev_b64 v[2:3], 3, v[3:4]
	v_mov_b32_e32 v4, s1
	v_add_co_u32_e32 v2, vcc, s0, v2
	v_lshlrev_b64 v[0:1], 3, v[0:1]
	v_addc_co_u32_e32 v3, vcc, v4, v3, vcc
	v_add_co_u32_e32 v0, vcc, v2, v0
	v_addc_co_u32_e32 v1, vcc, v3, v1, vcc
	global_store_dwordx2 v[0:1], v[5:6], off
.LBB2_2:
	s_endpgm
	.section	.rodata,"a",@progbits
	.p2align	6, 0x0
	.amdhsa_kernel _ZN4RAJA8internal22HipKernelLauncherFixedILi256ENS0_8LoopDataIN4camp5tupleIJNS_4SpanINS_9Iterators16numeric_iteratorIllPlEElEESA_SA_EEENS4_IJEEENS3_9resources2v13HipEJZN8rajaperf5basic11NESTED_INIT17runHipVariantImplILm256EEEvNSG_9VariantIDEEUllllE0_EEENS0_24HipStatementListExecutorISM_NS3_4listIJNS_9statement3ForILl2ENS_6policy3hip11hip_indexerINS_17iteration_mapping6DirectELNS_23kernel_sync_requirementE0EJNS_3hip11IndexGlobalILNS_9named_dimE2ELin1ELi0EEEEEEJNSQ_ILl1ENST_ISV_LSW_0EJNSY_ILSZ_1ELi8ELi0EEEEEEJNSQ_ILl0ENST_ISV_LSW_0EJNSY_ILSZ_0ELi32ELi0EEEEEEJNSP_6LambdaILl0EJEEEEEEEEEEEEEEENS0_9LoopTypesINSO_IJvvvEEES1D_EEEEEEvT0_
		.amdhsa_group_segment_fixed_size 0
		.amdhsa_private_segment_fixed_size 0
		.amdhsa_kernarg_size 136
		.amdhsa_user_sgpr_count 6
		.amdhsa_user_sgpr_private_segment_buffer 1
		.amdhsa_user_sgpr_dispatch_ptr 0
		.amdhsa_user_sgpr_queue_ptr 0
		.amdhsa_user_sgpr_kernarg_segment_ptr 1
		.amdhsa_user_sgpr_dispatch_id 0
		.amdhsa_user_sgpr_flat_scratch_init 0
		.amdhsa_user_sgpr_private_segment_size 0
		.amdhsa_uses_dynamic_stack 0
		.amdhsa_system_sgpr_private_segment_wavefront_offset 0
		.amdhsa_system_sgpr_workgroup_id_x 1
		.amdhsa_system_sgpr_workgroup_id_y 1
		.amdhsa_system_sgpr_workgroup_id_z 1
		.amdhsa_system_sgpr_workgroup_info 0
		.amdhsa_system_vgpr_workitem_id 1
		.amdhsa_next_free_vgpr 13
		.amdhsa_next_free_sgpr 24
		.amdhsa_reserve_vcc 1
		.amdhsa_reserve_flat_scratch 0
		.amdhsa_float_round_mode_32 0
		.amdhsa_float_round_mode_16_64 0
		.amdhsa_float_denorm_mode_32 3
		.amdhsa_float_denorm_mode_16_64 3
		.amdhsa_dx10_clamp 1
		.amdhsa_ieee_mode 1
		.amdhsa_fp16_overflow 0
		.amdhsa_exception_fp_ieee_invalid_op 0
		.amdhsa_exception_fp_denorm_src 0
		.amdhsa_exception_fp_ieee_div_zero 0
		.amdhsa_exception_fp_ieee_overflow 0
		.amdhsa_exception_fp_ieee_underflow 0
		.amdhsa_exception_fp_ieee_inexact 0
		.amdhsa_exception_int_div_zero 0
	.end_amdhsa_kernel
	.section	.text._ZN4RAJA8internal22HipKernelLauncherFixedILi256ENS0_8LoopDataIN4camp5tupleIJNS_4SpanINS_9Iterators16numeric_iteratorIllPlEElEESA_SA_EEENS4_IJEEENS3_9resources2v13HipEJZN8rajaperf5basic11NESTED_INIT17runHipVariantImplILm256EEEvNSG_9VariantIDEEUllllE0_EEENS0_24HipStatementListExecutorISM_NS3_4listIJNS_9statement3ForILl2ENS_6policy3hip11hip_indexerINS_17iteration_mapping6DirectELNS_23kernel_sync_requirementE0EJNS_3hip11IndexGlobalILNS_9named_dimE2ELin1ELi0EEEEEEJNSQ_ILl1ENST_ISV_LSW_0EJNSY_ILSZ_1ELi8ELi0EEEEEEJNSQ_ILl0ENST_ISV_LSW_0EJNSY_ILSZ_0ELi32ELi0EEEEEEJNSP_6LambdaILl0EJEEEEEEEEEEEEEEENS0_9LoopTypesINSO_IJvvvEEES1D_EEEEEEvT0_,"axG",@progbits,_ZN4RAJA8internal22HipKernelLauncherFixedILi256ENS0_8LoopDataIN4camp5tupleIJNS_4SpanINS_9Iterators16numeric_iteratorIllPlEElEESA_SA_EEENS4_IJEEENS3_9resources2v13HipEJZN8rajaperf5basic11NESTED_INIT17runHipVariantImplILm256EEEvNSG_9VariantIDEEUllllE0_EEENS0_24HipStatementListExecutorISM_NS3_4listIJNS_9statement3ForILl2ENS_6policy3hip11hip_indexerINS_17iteration_mapping6DirectELNS_23kernel_sync_requirementE0EJNS_3hip11IndexGlobalILNS_9named_dimE2ELin1ELi0EEEEEEJNSQ_ILl1ENST_ISV_LSW_0EJNSY_ILSZ_1ELi8ELi0EEEEEEJNSQ_ILl0ENST_ISV_LSW_0EJNSY_ILSZ_0ELi32ELi0EEEEEEJNSP_6LambdaILl0EJEEEEEEEEEEEEEEENS0_9LoopTypesINSO_IJvvvEEES1D_EEEEEEvT0_,comdat
.Lfunc_end2:
	.size	_ZN4RAJA8internal22HipKernelLauncherFixedILi256ENS0_8LoopDataIN4camp5tupleIJNS_4SpanINS_9Iterators16numeric_iteratorIllPlEElEESA_SA_EEENS4_IJEEENS3_9resources2v13HipEJZN8rajaperf5basic11NESTED_INIT17runHipVariantImplILm256EEEvNSG_9VariantIDEEUllllE0_EEENS0_24HipStatementListExecutorISM_NS3_4listIJNS_9statement3ForILl2ENS_6policy3hip11hip_indexerINS_17iteration_mapping6DirectELNS_23kernel_sync_requirementE0EJNS_3hip11IndexGlobalILNS_9named_dimE2ELin1ELi0EEEEEEJNSQ_ILl1ENST_ISV_LSW_0EJNSY_ILSZ_1ELi8ELi0EEEEEEJNSQ_ILl0ENST_ISV_LSW_0EJNSY_ILSZ_0ELi32ELi0EEEEEEJNSP_6LambdaILl0EJEEEEEEEEEEEEEEENS0_9LoopTypesINSO_IJvvvEEES1D_EEEEEEvT0_, .Lfunc_end2-_ZN4RAJA8internal22HipKernelLauncherFixedILi256ENS0_8LoopDataIN4camp5tupleIJNS_4SpanINS_9Iterators16numeric_iteratorIllPlEElEESA_SA_EEENS4_IJEEENS3_9resources2v13HipEJZN8rajaperf5basic11NESTED_INIT17runHipVariantImplILm256EEEvNSG_9VariantIDEEUllllE0_EEENS0_24HipStatementListExecutorISM_NS3_4listIJNS_9statement3ForILl2ENS_6policy3hip11hip_indexerINS_17iteration_mapping6DirectELNS_23kernel_sync_requirementE0EJNS_3hip11IndexGlobalILNS_9named_dimE2ELin1ELi0EEEEEEJNSQ_ILl1ENST_ISV_LSW_0EJNSY_ILSZ_1ELi8ELi0EEEEEEJNSQ_ILl0ENST_ISV_LSW_0EJNSY_ILSZ_0ELi32ELi0EEEEEEJNSP_6LambdaILl0EJEEEEEEEEEEEEEEENS0_9LoopTypesINSO_IJvvvEEES1D_EEEEEEvT0_
                                        ; -- End function
	.set _ZN4RAJA8internal22HipKernelLauncherFixedILi256ENS0_8LoopDataIN4camp5tupleIJNS_4SpanINS_9Iterators16numeric_iteratorIllPlEElEESA_SA_EEENS4_IJEEENS3_9resources2v13HipEJZN8rajaperf5basic11NESTED_INIT17runHipVariantImplILm256EEEvNSG_9VariantIDEEUllllE0_EEENS0_24HipStatementListExecutorISM_NS3_4listIJNS_9statement3ForILl2ENS_6policy3hip11hip_indexerINS_17iteration_mapping6DirectELNS_23kernel_sync_requirementE0EJNS_3hip11IndexGlobalILNS_9named_dimE2ELin1ELi0EEEEEEJNSQ_ILl1ENST_ISV_LSW_0EJNSY_ILSZ_1ELi8ELi0EEEEEEJNSQ_ILl0ENST_ISV_LSW_0EJNSY_ILSZ_0ELi32ELi0EEEEEEJNSP_6LambdaILl0EJEEEEEEEEEEEEEEENS0_9LoopTypesINSO_IJvvvEEES1D_EEEEEEvT0_.num_vgpr, 13
	.set _ZN4RAJA8internal22HipKernelLauncherFixedILi256ENS0_8LoopDataIN4camp5tupleIJNS_4SpanINS_9Iterators16numeric_iteratorIllPlEElEESA_SA_EEENS4_IJEEENS3_9resources2v13HipEJZN8rajaperf5basic11NESTED_INIT17runHipVariantImplILm256EEEvNSG_9VariantIDEEUllllE0_EEENS0_24HipStatementListExecutorISM_NS3_4listIJNS_9statement3ForILl2ENS_6policy3hip11hip_indexerINS_17iteration_mapping6DirectELNS_23kernel_sync_requirementE0EJNS_3hip11IndexGlobalILNS_9named_dimE2ELin1ELi0EEEEEEJNSQ_ILl1ENST_ISV_LSW_0EJNSY_ILSZ_1ELi8ELi0EEEEEEJNSQ_ILl0ENST_ISV_LSW_0EJNSY_ILSZ_0ELi32ELi0EEEEEEJNSP_6LambdaILl0EJEEEEEEEEEEEEEEENS0_9LoopTypesINSO_IJvvvEEES1D_EEEEEEvT0_.num_agpr, 0
	.set _ZN4RAJA8internal22HipKernelLauncherFixedILi256ENS0_8LoopDataIN4camp5tupleIJNS_4SpanINS_9Iterators16numeric_iteratorIllPlEElEESA_SA_EEENS4_IJEEENS3_9resources2v13HipEJZN8rajaperf5basic11NESTED_INIT17runHipVariantImplILm256EEEvNSG_9VariantIDEEUllllE0_EEENS0_24HipStatementListExecutorISM_NS3_4listIJNS_9statement3ForILl2ENS_6policy3hip11hip_indexerINS_17iteration_mapping6DirectELNS_23kernel_sync_requirementE0EJNS_3hip11IndexGlobalILNS_9named_dimE2ELin1ELi0EEEEEEJNSQ_ILl1ENST_ISV_LSW_0EJNSY_ILSZ_1ELi8ELi0EEEEEEJNSQ_ILl0ENST_ISV_LSW_0EJNSY_ILSZ_0ELi32ELi0EEEEEEJNSP_6LambdaILl0EJEEEEEEEEEEEEEEENS0_9LoopTypesINSO_IJvvvEEES1D_EEEEEEvT0_.numbered_sgpr, 24
	.set _ZN4RAJA8internal22HipKernelLauncherFixedILi256ENS0_8LoopDataIN4camp5tupleIJNS_4SpanINS_9Iterators16numeric_iteratorIllPlEElEESA_SA_EEENS4_IJEEENS3_9resources2v13HipEJZN8rajaperf5basic11NESTED_INIT17runHipVariantImplILm256EEEvNSG_9VariantIDEEUllllE0_EEENS0_24HipStatementListExecutorISM_NS3_4listIJNS_9statement3ForILl2ENS_6policy3hip11hip_indexerINS_17iteration_mapping6DirectELNS_23kernel_sync_requirementE0EJNS_3hip11IndexGlobalILNS_9named_dimE2ELin1ELi0EEEEEEJNSQ_ILl1ENST_ISV_LSW_0EJNSY_ILSZ_1ELi8ELi0EEEEEEJNSQ_ILl0ENST_ISV_LSW_0EJNSY_ILSZ_0ELi32ELi0EEEEEEJNSP_6LambdaILl0EJEEEEEEEEEEEEEEENS0_9LoopTypesINSO_IJvvvEEES1D_EEEEEEvT0_.num_named_barrier, 0
	.set _ZN4RAJA8internal22HipKernelLauncherFixedILi256ENS0_8LoopDataIN4camp5tupleIJNS_4SpanINS_9Iterators16numeric_iteratorIllPlEElEESA_SA_EEENS4_IJEEENS3_9resources2v13HipEJZN8rajaperf5basic11NESTED_INIT17runHipVariantImplILm256EEEvNSG_9VariantIDEEUllllE0_EEENS0_24HipStatementListExecutorISM_NS3_4listIJNS_9statement3ForILl2ENS_6policy3hip11hip_indexerINS_17iteration_mapping6DirectELNS_23kernel_sync_requirementE0EJNS_3hip11IndexGlobalILNS_9named_dimE2ELin1ELi0EEEEEEJNSQ_ILl1ENST_ISV_LSW_0EJNSY_ILSZ_1ELi8ELi0EEEEEEJNSQ_ILl0ENST_ISV_LSW_0EJNSY_ILSZ_0ELi32ELi0EEEEEEJNSP_6LambdaILl0EJEEEEEEEEEEEEEEENS0_9LoopTypesINSO_IJvvvEEES1D_EEEEEEvT0_.private_seg_size, 0
	.set _ZN4RAJA8internal22HipKernelLauncherFixedILi256ENS0_8LoopDataIN4camp5tupleIJNS_4SpanINS_9Iterators16numeric_iteratorIllPlEElEESA_SA_EEENS4_IJEEENS3_9resources2v13HipEJZN8rajaperf5basic11NESTED_INIT17runHipVariantImplILm256EEEvNSG_9VariantIDEEUllllE0_EEENS0_24HipStatementListExecutorISM_NS3_4listIJNS_9statement3ForILl2ENS_6policy3hip11hip_indexerINS_17iteration_mapping6DirectELNS_23kernel_sync_requirementE0EJNS_3hip11IndexGlobalILNS_9named_dimE2ELin1ELi0EEEEEEJNSQ_ILl1ENST_ISV_LSW_0EJNSY_ILSZ_1ELi8ELi0EEEEEEJNSQ_ILl0ENST_ISV_LSW_0EJNSY_ILSZ_0ELi32ELi0EEEEEEJNSP_6LambdaILl0EJEEEEEEEEEEEEEEENS0_9LoopTypesINSO_IJvvvEEES1D_EEEEEEvT0_.uses_vcc, 1
	.set _ZN4RAJA8internal22HipKernelLauncherFixedILi256ENS0_8LoopDataIN4camp5tupleIJNS_4SpanINS_9Iterators16numeric_iteratorIllPlEElEESA_SA_EEENS4_IJEEENS3_9resources2v13HipEJZN8rajaperf5basic11NESTED_INIT17runHipVariantImplILm256EEEvNSG_9VariantIDEEUllllE0_EEENS0_24HipStatementListExecutorISM_NS3_4listIJNS_9statement3ForILl2ENS_6policy3hip11hip_indexerINS_17iteration_mapping6DirectELNS_23kernel_sync_requirementE0EJNS_3hip11IndexGlobalILNS_9named_dimE2ELin1ELi0EEEEEEJNSQ_ILl1ENST_ISV_LSW_0EJNSY_ILSZ_1ELi8ELi0EEEEEEJNSQ_ILl0ENST_ISV_LSW_0EJNSY_ILSZ_0ELi32ELi0EEEEEEJNSP_6LambdaILl0EJEEEEEEEEEEEEEEENS0_9LoopTypesINSO_IJvvvEEES1D_EEEEEEvT0_.uses_flat_scratch, 0
	.set _ZN4RAJA8internal22HipKernelLauncherFixedILi256ENS0_8LoopDataIN4camp5tupleIJNS_4SpanINS_9Iterators16numeric_iteratorIllPlEElEESA_SA_EEENS4_IJEEENS3_9resources2v13HipEJZN8rajaperf5basic11NESTED_INIT17runHipVariantImplILm256EEEvNSG_9VariantIDEEUllllE0_EEENS0_24HipStatementListExecutorISM_NS3_4listIJNS_9statement3ForILl2ENS_6policy3hip11hip_indexerINS_17iteration_mapping6DirectELNS_23kernel_sync_requirementE0EJNS_3hip11IndexGlobalILNS_9named_dimE2ELin1ELi0EEEEEEJNSQ_ILl1ENST_ISV_LSW_0EJNSY_ILSZ_1ELi8ELi0EEEEEEJNSQ_ILl0ENST_ISV_LSW_0EJNSY_ILSZ_0ELi32ELi0EEEEEEJNSP_6LambdaILl0EJEEEEEEEEEEEEEEENS0_9LoopTypesINSO_IJvvvEEES1D_EEEEEEvT0_.has_dyn_sized_stack, 0
	.set _ZN4RAJA8internal22HipKernelLauncherFixedILi256ENS0_8LoopDataIN4camp5tupleIJNS_4SpanINS_9Iterators16numeric_iteratorIllPlEElEESA_SA_EEENS4_IJEEENS3_9resources2v13HipEJZN8rajaperf5basic11NESTED_INIT17runHipVariantImplILm256EEEvNSG_9VariantIDEEUllllE0_EEENS0_24HipStatementListExecutorISM_NS3_4listIJNS_9statement3ForILl2ENS_6policy3hip11hip_indexerINS_17iteration_mapping6DirectELNS_23kernel_sync_requirementE0EJNS_3hip11IndexGlobalILNS_9named_dimE2ELin1ELi0EEEEEEJNSQ_ILl1ENST_ISV_LSW_0EJNSY_ILSZ_1ELi8ELi0EEEEEEJNSQ_ILl0ENST_ISV_LSW_0EJNSY_ILSZ_0ELi32ELi0EEEEEEJNSP_6LambdaILl0EJEEEEEEEEEEEEEEENS0_9LoopTypesINSO_IJvvvEEES1D_EEEEEEvT0_.has_recursion, 0
	.set _ZN4RAJA8internal22HipKernelLauncherFixedILi256ENS0_8LoopDataIN4camp5tupleIJNS_4SpanINS_9Iterators16numeric_iteratorIllPlEElEESA_SA_EEENS4_IJEEENS3_9resources2v13HipEJZN8rajaperf5basic11NESTED_INIT17runHipVariantImplILm256EEEvNSG_9VariantIDEEUllllE0_EEENS0_24HipStatementListExecutorISM_NS3_4listIJNS_9statement3ForILl2ENS_6policy3hip11hip_indexerINS_17iteration_mapping6DirectELNS_23kernel_sync_requirementE0EJNS_3hip11IndexGlobalILNS_9named_dimE2ELin1ELi0EEEEEEJNSQ_ILl1ENST_ISV_LSW_0EJNSY_ILSZ_1ELi8ELi0EEEEEEJNSQ_ILl0ENST_ISV_LSW_0EJNSY_ILSZ_0ELi32ELi0EEEEEEJNSP_6LambdaILl0EJEEEEEEEEEEEEEEENS0_9LoopTypesINSO_IJvvvEEES1D_EEEEEEvT0_.has_indirect_call, 0
	.section	.AMDGPU.csdata,"",@progbits
; Kernel info:
; codeLenInByte = 416
; TotalNumSgprs: 28
; NumVgprs: 13
; ScratchSize: 0
; MemoryBound: 0
; FloatMode: 240
; IeeeMode: 1
; LDSByteSize: 0 bytes/workgroup (compile time only)
; SGPRBlocks: 3
; VGPRBlocks: 3
; NumSGPRsForWavesPerEU: 28
; NumVGPRsForWavesPerEU: 13
; Occupancy: 10
; WaveLimiterHint : 0
; COMPUTE_PGM_RSRC2:SCRATCH_EN: 0
; COMPUTE_PGM_RSRC2:USER_SGPR: 6
; COMPUTE_PGM_RSRC2:TRAP_HANDLER: 0
; COMPUTE_PGM_RSRC2:TGID_X_EN: 1
; COMPUTE_PGM_RSRC2:TGID_Y_EN: 1
; COMPUTE_PGM_RSRC2:TGID_Z_EN: 1
; COMPUTE_PGM_RSRC2:TIDIG_COMP_CNT: 1
	.section	.AMDGPU.gpr_maximums,"",@progbits
	.set amdgpu.max_num_vgpr, 0
	.set amdgpu.max_num_agpr, 0
	.set amdgpu.max_num_sgpr, 0
	.section	.AMDGPU.csdata,"",@progbits
	.type	__hip_cuid_673dc718b7ea575b,@object ; @__hip_cuid_673dc718b7ea575b
	.section	.bss,"aw",@nobits
	.globl	__hip_cuid_673dc718b7ea575b
__hip_cuid_673dc718b7ea575b:
	.byte	0                               ; 0x0
	.size	__hip_cuid_673dc718b7ea575b, 1

	.ident	"AMD clang version 22.0.0git (https://github.com/RadeonOpenCompute/llvm-project roc-7.2.4 26084 f58b06dce1f9c15707c5f808fd002e18c2accf7e)"
	.section	".note.GNU-stack","",@progbits
	.addrsig
	.addrsig_sym __hip_cuid_673dc718b7ea575b
	.amdgpu_metadata
---
amdhsa.kernels:
  - .args:
      - .address_space:  global
        .offset:         0
        .size:           8
        .value_kind:     global_buffer
      - .offset:         8
        .size:           8
        .value_kind:     by_value
      - .offset:         16
        .size:           8
        .value_kind:     by_value
      - .offset:         24
        .size:           8
        .value_kind:     by_value
    .group_segment_fixed_size: 0
    .kernarg_segment_align: 8
    .kernarg_segment_size: 32
    .language:       OpenCL C
    .language_version:
      - 2
      - 0
    .max_flat_workgroup_size: 256
    .name:           _ZN8rajaperf5basic11nested_initILm32ELm8ELm1EEEvPdlll
    .private_segment_fixed_size: 0
    .sgpr_count:     24
    .sgpr_spill_count: 0
    .symbol:         _ZN8rajaperf5basic11nested_initILm32ELm8ELm1EEEvPdlll.kd
    .uniform_work_group_size: 1
    .uses_dynamic_stack: false
    .vgpr_count:     11
    .vgpr_spill_count: 0
    .wavefront_size: 64
  - .args:
      - .offset:         0
        .size:           8
        .value_kind:     by_value
      - .offset:         8
        .size:           8
        .value_kind:     by_value
      - .offset:         16
        .size:           8
        .value_kind:     by_value
      - .offset:         24
        .size:           24
        .value_kind:     by_value
    .group_segment_fixed_size: 0
    .kernarg_segment_align: 8
    .kernarg_segment_size: 48
    .language:       OpenCL C
    .language_version:
      - 2
      - 0
    .max_flat_workgroup_size: 256
    .name:           _ZN8rajaperf5basic15nested_init_lamILm32ELm8ELm1EZNS0_11NESTED_INIT17runHipVariantImplILm256EEEvNS_9VariantIDEEUllllE_EEvlllT2_
    .private_segment_fixed_size: 0
    .sgpr_count:     20
    .sgpr_spill_count: 0
    .symbol:         _ZN8rajaperf5basic15nested_init_lamILm32ELm8ELm1EZNS0_11NESTED_INIT17runHipVariantImplILm256EEEvNS_9VariantIDEEUllllE_EEvlllT2_.kd
    .uniform_work_group_size: 1
    .uses_dynamic_stack: false
    .vgpr_count:     11
    .vgpr_spill_count: 0
    .wavefront_size: 64
  - .args:
      - .offset:         0
        .size:           136
        .value_kind:     by_value
    .group_segment_fixed_size: 0
    .kernarg_segment_align: 8
    .kernarg_segment_size: 136
    .language:       OpenCL C
    .language_version:
      - 2
      - 0
    .max_flat_workgroup_size: 256
    .name:           _ZN4RAJA8internal22HipKernelLauncherFixedILi256ENS0_8LoopDataIN4camp5tupleIJNS_4SpanINS_9Iterators16numeric_iteratorIllPlEElEESA_SA_EEENS4_IJEEENS3_9resources2v13HipEJZN8rajaperf5basic11NESTED_INIT17runHipVariantImplILm256EEEvNSG_9VariantIDEEUllllE0_EEENS0_24HipStatementListExecutorISM_NS3_4listIJNS_9statement3ForILl2ENS_6policy3hip11hip_indexerINS_17iteration_mapping6DirectELNS_23kernel_sync_requirementE0EJNS_3hip11IndexGlobalILNS_9named_dimE2ELin1ELi0EEEEEEJNSQ_ILl1ENST_ISV_LSW_0EJNSY_ILSZ_1ELi8ELi0EEEEEEJNSQ_ILl0ENST_ISV_LSW_0EJNSY_ILSZ_0ELi32ELi0EEEEEEJNSP_6LambdaILl0EJEEEEEEEEEEEEEEENS0_9LoopTypesINSO_IJvvvEEES1D_EEEEEEvT0_
    .private_segment_fixed_size: 0
    .sgpr_count:     28
    .sgpr_spill_count: 0
    .symbol:         _ZN4RAJA8internal22HipKernelLauncherFixedILi256ENS0_8LoopDataIN4camp5tupleIJNS_4SpanINS_9Iterators16numeric_iteratorIllPlEElEESA_SA_EEENS4_IJEEENS3_9resources2v13HipEJZN8rajaperf5basic11NESTED_INIT17runHipVariantImplILm256EEEvNSG_9VariantIDEEUllllE0_EEENS0_24HipStatementListExecutorISM_NS3_4listIJNS_9statement3ForILl2ENS_6policy3hip11hip_indexerINS_17iteration_mapping6DirectELNS_23kernel_sync_requirementE0EJNS_3hip11IndexGlobalILNS_9named_dimE2ELin1ELi0EEEEEEJNSQ_ILl1ENST_ISV_LSW_0EJNSY_ILSZ_1ELi8ELi0EEEEEEJNSQ_ILl0ENST_ISV_LSW_0EJNSY_ILSZ_0ELi32ELi0EEEEEEJNSP_6LambdaILl0EJEEEEEEEEEEEEEEENS0_9LoopTypesINSO_IJvvvEEES1D_EEEEEEvT0_.kd
    .uniform_work_group_size: 1
    .uses_dynamic_stack: false
    .vgpr_count:     13
    .vgpr_spill_count: 0
    .wavefront_size: 64
amdhsa.target:   amdgcn-amd-amdhsa--gfx906
amdhsa.version:
  - 1
  - 2
...

	.end_amdgpu_metadata
